;; amdgpu-corpus repo=ROCm/rocFFT kind=compiled arch=gfx1030 opt=O3
	.text
	.amdgcn_target "amdgcn-amd-amdhsa--gfx1030"
	.amdhsa_code_object_version 6
	.protected	fft_rtc_fwd_len990_factors_2_3_3_5_11_wgs_110_tpt_110_dp_ip_CI_unitstride_sbrr_dirReg ; -- Begin function fft_rtc_fwd_len990_factors_2_3_3_5_11_wgs_110_tpt_110_dp_ip_CI_unitstride_sbrr_dirReg
	.globl	fft_rtc_fwd_len990_factors_2_3_3_5_11_wgs_110_tpt_110_dp_ip_CI_unitstride_sbrr_dirReg
	.p2align	8
	.type	fft_rtc_fwd_len990_factors_2_3_3_5_11_wgs_110_tpt_110_dp_ip_CI_unitstride_sbrr_dirReg,@function
fft_rtc_fwd_len990_factors_2_3_3_5_11_wgs_110_tpt_110_dp_ip_CI_unitstride_sbrr_dirReg: ; @fft_rtc_fwd_len990_factors_2_3_3_5_11_wgs_110_tpt_110_dp_ip_CI_unitstride_sbrr_dirReg
; %bb.0:
	s_clause 0x2
	s_load_dwordx4 s[8:11], s[4:5], 0x0
	s_load_dwordx2 s[2:3], s[4:5], 0x50
	s_load_dwordx2 s[12:13], s[4:5], 0x18
	v_mul_u32_u24_e32 v1, 0x254, v0
	v_mov_b32_e32 v3, 0
	v_add_nc_u32_sdwa v5, s6, v1 dst_sel:DWORD dst_unused:UNUSED_PAD src0_sel:DWORD src1_sel:WORD_1
	v_mov_b32_e32 v1, 0
	v_mov_b32_e32 v6, v3
	v_mov_b32_e32 v2, 0
	s_waitcnt lgkmcnt(0)
	v_cmp_lt_u64_e64 s0, s[10:11], 2
	s_and_b32 vcc_lo, exec_lo, s0
	s_cbranch_vccnz .LBB0_8
; %bb.1:
	s_load_dwordx2 s[0:1], s[4:5], 0x10
	v_mov_b32_e32 v1, 0
	s_add_u32 s6, s12, 8
	v_mov_b32_e32 v2, 0
	s_addc_u32 s7, s13, 0
	s_mov_b64 s[16:17], 1
	s_waitcnt lgkmcnt(0)
	s_add_u32 s14, s0, 8
	s_addc_u32 s15, s1, 0
.LBB0_2:                                ; =>This Inner Loop Header: Depth=1
	s_load_dwordx2 s[18:19], s[14:15], 0x0
                                        ; implicit-def: $vgpr7_vgpr8
	s_mov_b32 s0, exec_lo
	s_waitcnt lgkmcnt(0)
	v_or_b32_e32 v4, s19, v6
	v_cmpx_ne_u64_e32 0, v[3:4]
	s_xor_b32 s1, exec_lo, s0
	s_cbranch_execz .LBB0_4
; %bb.3:                                ;   in Loop: Header=BB0_2 Depth=1
	v_cvt_f32_u32_e32 v4, s18
	v_cvt_f32_u32_e32 v7, s19
	s_sub_u32 s0, 0, s18
	s_subb_u32 s20, 0, s19
	v_fmac_f32_e32 v4, 0x4f800000, v7
	v_rcp_f32_e32 v4, v4
	v_mul_f32_e32 v4, 0x5f7ffffc, v4
	v_mul_f32_e32 v7, 0x2f800000, v4
	v_trunc_f32_e32 v7, v7
	v_fmac_f32_e32 v4, 0xcf800000, v7
	v_cvt_u32_f32_e32 v7, v7
	v_cvt_u32_f32_e32 v4, v4
	v_mul_lo_u32 v8, s0, v7
	v_mul_hi_u32 v9, s0, v4
	v_mul_lo_u32 v10, s20, v4
	v_add_nc_u32_e32 v8, v9, v8
	v_mul_lo_u32 v9, s0, v4
	v_add_nc_u32_e32 v8, v8, v10
	v_mul_hi_u32 v10, v4, v9
	v_mul_lo_u32 v11, v4, v8
	v_mul_hi_u32 v12, v4, v8
	v_mul_hi_u32 v13, v7, v9
	v_mul_lo_u32 v9, v7, v9
	v_mul_hi_u32 v14, v7, v8
	v_mul_lo_u32 v8, v7, v8
	v_add_co_u32 v10, vcc_lo, v10, v11
	v_add_co_ci_u32_e32 v11, vcc_lo, 0, v12, vcc_lo
	v_add_co_u32 v9, vcc_lo, v10, v9
	v_add_co_ci_u32_e32 v9, vcc_lo, v11, v13, vcc_lo
	v_add_co_ci_u32_e32 v10, vcc_lo, 0, v14, vcc_lo
	v_add_co_u32 v8, vcc_lo, v9, v8
	v_add_co_ci_u32_e32 v9, vcc_lo, 0, v10, vcc_lo
	v_add_co_u32 v4, vcc_lo, v4, v8
	v_add_co_ci_u32_e32 v7, vcc_lo, v7, v9, vcc_lo
	v_mul_hi_u32 v8, s0, v4
	v_mul_lo_u32 v10, s20, v4
	v_mul_lo_u32 v9, s0, v7
	v_add_nc_u32_e32 v8, v8, v9
	v_mul_lo_u32 v9, s0, v4
	v_add_nc_u32_e32 v8, v8, v10
	v_mul_hi_u32 v10, v4, v9
	v_mul_lo_u32 v11, v4, v8
	v_mul_hi_u32 v12, v4, v8
	v_mul_hi_u32 v13, v7, v9
	v_mul_lo_u32 v9, v7, v9
	v_mul_hi_u32 v14, v7, v8
	v_mul_lo_u32 v8, v7, v8
	v_add_co_u32 v10, vcc_lo, v10, v11
	v_add_co_ci_u32_e32 v11, vcc_lo, 0, v12, vcc_lo
	v_add_co_u32 v9, vcc_lo, v10, v9
	v_add_co_ci_u32_e32 v9, vcc_lo, v11, v13, vcc_lo
	v_add_co_ci_u32_e32 v10, vcc_lo, 0, v14, vcc_lo
	v_add_co_u32 v8, vcc_lo, v9, v8
	v_add_co_ci_u32_e32 v9, vcc_lo, 0, v10, vcc_lo
	v_add_co_u32 v4, vcc_lo, v4, v8
	v_add_co_ci_u32_e32 v11, vcc_lo, v7, v9, vcc_lo
	v_mul_hi_u32 v13, v5, v4
	v_mad_u64_u32 v[9:10], null, v6, v4, 0
	v_mad_u64_u32 v[7:8], null, v5, v11, 0
	;; [unrolled: 1-line block ×3, first 2 shown]
	v_add_co_u32 v4, vcc_lo, v13, v7
	v_add_co_ci_u32_e32 v7, vcc_lo, 0, v8, vcc_lo
	v_add_co_u32 v4, vcc_lo, v4, v9
	v_add_co_ci_u32_e32 v4, vcc_lo, v7, v10, vcc_lo
	v_add_co_ci_u32_e32 v7, vcc_lo, 0, v12, vcc_lo
	v_add_co_u32 v4, vcc_lo, v4, v11
	v_add_co_ci_u32_e32 v9, vcc_lo, 0, v7, vcc_lo
	v_mul_lo_u32 v10, s19, v4
	v_mad_u64_u32 v[7:8], null, s18, v4, 0
	v_mul_lo_u32 v11, s18, v9
	v_sub_co_u32 v7, vcc_lo, v5, v7
	v_add3_u32 v8, v8, v11, v10
	v_sub_nc_u32_e32 v10, v6, v8
	v_subrev_co_ci_u32_e64 v10, s0, s19, v10, vcc_lo
	v_add_co_u32 v11, s0, v4, 2
	v_add_co_ci_u32_e64 v12, s0, 0, v9, s0
	v_sub_co_u32 v13, s0, v7, s18
	v_sub_co_ci_u32_e32 v8, vcc_lo, v6, v8, vcc_lo
	v_subrev_co_ci_u32_e64 v10, s0, 0, v10, s0
	v_cmp_le_u32_e32 vcc_lo, s18, v13
	v_cmp_eq_u32_e64 s0, s19, v8
	v_cndmask_b32_e64 v13, 0, -1, vcc_lo
	v_cmp_le_u32_e32 vcc_lo, s19, v10
	v_cndmask_b32_e64 v14, 0, -1, vcc_lo
	v_cmp_le_u32_e32 vcc_lo, s18, v7
	;; [unrolled: 2-line block ×3, first 2 shown]
	v_cndmask_b32_e64 v15, 0, -1, vcc_lo
	v_cmp_eq_u32_e32 vcc_lo, s19, v10
	v_cndmask_b32_e64 v7, v15, v7, s0
	v_cndmask_b32_e32 v10, v14, v13, vcc_lo
	v_add_co_u32 v13, vcc_lo, v4, 1
	v_add_co_ci_u32_e32 v14, vcc_lo, 0, v9, vcc_lo
	v_cmp_ne_u32_e32 vcc_lo, 0, v10
	v_cndmask_b32_e32 v8, v14, v12, vcc_lo
	v_cndmask_b32_e32 v10, v13, v11, vcc_lo
	v_cmp_ne_u32_e32 vcc_lo, 0, v7
	v_cndmask_b32_e32 v8, v9, v8, vcc_lo
	v_cndmask_b32_e32 v7, v4, v10, vcc_lo
.LBB0_4:                                ;   in Loop: Header=BB0_2 Depth=1
	s_andn2_saveexec_b32 s0, s1
	s_cbranch_execz .LBB0_6
; %bb.5:                                ;   in Loop: Header=BB0_2 Depth=1
	v_cvt_f32_u32_e32 v4, s18
	s_sub_i32 s1, 0, s18
	v_rcp_iflag_f32_e32 v4, v4
	v_mul_f32_e32 v4, 0x4f7ffffe, v4
	v_cvt_u32_f32_e32 v4, v4
	v_mul_lo_u32 v7, s1, v4
	v_mul_hi_u32 v7, v4, v7
	v_add_nc_u32_e32 v4, v4, v7
	v_mul_hi_u32 v4, v5, v4
	v_mul_lo_u32 v7, v4, s18
	v_add_nc_u32_e32 v8, 1, v4
	v_sub_nc_u32_e32 v7, v5, v7
	v_subrev_nc_u32_e32 v9, s18, v7
	v_cmp_le_u32_e32 vcc_lo, s18, v7
	v_cndmask_b32_e32 v7, v7, v9, vcc_lo
	v_cndmask_b32_e32 v4, v4, v8, vcc_lo
	v_cmp_le_u32_e32 vcc_lo, s18, v7
	v_add_nc_u32_e32 v8, 1, v4
	v_cndmask_b32_e32 v7, v4, v8, vcc_lo
	v_mov_b32_e32 v8, v3
.LBB0_6:                                ;   in Loop: Header=BB0_2 Depth=1
	s_or_b32 exec_lo, exec_lo, s0
	s_load_dwordx2 s[0:1], s[6:7], 0x0
	v_mul_lo_u32 v4, v8, s18
	v_mul_lo_u32 v11, v7, s19
	v_mad_u64_u32 v[9:10], null, v7, s18, 0
	s_add_u32 s16, s16, 1
	s_addc_u32 s17, s17, 0
	s_add_u32 s6, s6, 8
	s_addc_u32 s7, s7, 0
	;; [unrolled: 2-line block ×3, first 2 shown]
	v_add3_u32 v4, v10, v11, v4
	v_sub_co_u32 v5, vcc_lo, v5, v9
	v_sub_co_ci_u32_e32 v4, vcc_lo, v6, v4, vcc_lo
	s_waitcnt lgkmcnt(0)
	v_mul_lo_u32 v6, s1, v5
	v_mul_lo_u32 v4, s0, v4
	v_mad_u64_u32 v[1:2], null, s0, v5, v[1:2]
	v_cmp_ge_u64_e64 s0, s[16:17], s[10:11]
	s_and_b32 vcc_lo, exec_lo, s0
	v_add3_u32 v2, v6, v2, v4
	s_cbranch_vccnz .LBB0_9
; %bb.7:                                ;   in Loop: Header=BB0_2 Depth=1
	v_mov_b32_e32 v5, v7
	v_mov_b32_e32 v6, v8
	s_branch .LBB0_2
.LBB0_8:
	v_mov_b32_e32 v8, v6
	v_mov_b32_e32 v7, v5
.LBB0_9:
	s_lshl_b64 s[0:1], s[10:11], 3
	v_mul_hi_u32 v5, 0x253c826, v0
	s_add_u32 s0, s12, s0
	s_addc_u32 s1, s13, s1
                                        ; implicit-def: $vgpr26_vgpr27
                                        ; implicit-def: $vgpr22_vgpr23
                                        ; implicit-def: $vgpr14_vgpr15
                                        ; implicit-def: $vgpr30_vgpr31
                                        ; implicit-def: $vgpr18_vgpr19
                                        ; implicit-def: $vgpr34_vgpr35
                                        ; implicit-def: $vgpr10_vgpr11
                                        ; implicit-def: $vgpr38_vgpr39
	s_load_dwordx2 s[0:1], s[0:1], 0x0
	s_load_dwordx2 s[4:5], s[4:5], 0x20
	s_waitcnt lgkmcnt(0)
	v_mul_lo_u32 v3, s0, v8
	v_mul_lo_u32 v4, s1, v7
	v_mad_u64_u32 v[1:2], null, s0, v7, v[1:2]
	v_cmp_gt_u64_e32 vcc_lo, s[4:5], v[7:8]
                                        ; implicit-def: $vgpr6_vgpr7
	v_add3_u32 v2, v4, v2, v3
	v_mul_u32_u24_e32 v3, 0x6e, v5
	v_lshlrev_b64 v[86:87], 4, v[1:2]
	v_sub_nc_u32_e32 v84, v0, v3
                                        ; implicit-def: $vgpr2_vgpr3
	s_and_saveexec_b32 s1, vcc_lo
	s_cbranch_execz .LBB0_13
; %bb.10:
	v_mov_b32_e32 v85, 0
	v_add_co_u32 v2, s0, s2, v86
	v_add_co_ci_u32_e64 v3, s0, s3, v87, s0
	v_lshlrev_b64 v[0:1], 4, v[84:85]
	s_mov_b32 s4, exec_lo
                                        ; implicit-def: $vgpr24_vgpr25
	v_add_co_u32 v6, s0, v2, v0
	v_add_co_ci_u32_e64 v7, s0, v3, v1, s0
	s_clause 0x1
	global_load_dwordx4 v[0:3], v[6:7], off
	global_load_dwordx4 v[8:11], v[6:7], off offset:1760
	v_add_co_u32 v26, s0, 0x1800, v6
	v_add_co_ci_u32_e64 v27, s0, 0, v7, s0
	v_add_co_u32 v4, s0, 0x2000, v6
	v_add_co_ci_u32_e64 v5, s0, 0, v7, s0
	v_add_co_u32 v12, s0, 0x800, v6
	v_add_co_ci_u32_e64 v13, s0, 0, v7, s0
	v_add_co_u32 v14, s0, 0x2800, v6
	v_add_co_ci_u32_e64 v15, s0, 0, v7, s0
	v_add_co_u32 v20, s0, 0x1000, v6
	v_add_co_ci_u32_e64 v21, s0, 0, v7, s0
	v_add_co_u32 v22, s0, 0x3000, v6
	v_add_co_ci_u32_e64 v23, s0, 0, v7, s0
	s_clause 0x5
	global_load_dwordx4 v[36:39], v[26:27], off offset:1776
	global_load_dwordx4 v[32:35], v[4:5], off offset:1488
	global_load_dwordx4 v[16:19], v[12:13], off offset:1472
	global_load_dwordx4 v[28:31], v[14:15], off offset:1200
	global_load_dwordx4 v[12:15], v[20:21], off offset:1184
	global_load_dwordx4 v[20:23], v[22:23], off offset:912
                                        ; implicit-def: $vgpr4_vgpr5
	v_cmpx_gt_u32_e32 55, v84
; %bb.11:
	v_add_co_u32 v24, s0, 0x3800, v6
	v_add_co_ci_u32_e64 v25, s0, 0, v7, s0
	s_clause 0x1
	global_load_dwordx4 v[4:7], v[26:27], off offset:896
	global_load_dwordx4 v[24:27], v[24:25], off offset:624
; %bb.12:
	s_or_b32 exec_lo, exec_lo, s4
.LBB0_13:
	s_or_b32 exec_lo, exec_lo, s1
	s_waitcnt vmcnt(5)
	v_add_f64 v[36:37], v[0:1], -v[36:37]
	v_add_f64 v[38:39], v[2:3], -v[38:39]
	s_waitcnt vmcnt(4)
	v_add_f64 v[32:33], v[8:9], -v[32:33]
	v_add_f64 v[34:35], v[10:11], -v[34:35]
	;; [unrolled: 3-line block ×4, first 2 shown]
	v_add_nc_u32_e32 v41, 0x6e, v84
	s_mov_b32 s1, exec_lo
	v_fma_f64 v[42:43], v[0:1], 2.0, -v[36:37]
	v_fma_f64 v[44:45], v[2:3], 2.0, -v[38:39]
	v_add_f64 v[0:1], v[4:5], -v[24:25]
	v_add_f64 v[2:3], v[6:7], -v[26:27]
	v_fma_f64 v[46:47], v[8:9], 2.0, -v[32:33]
	v_fma_f64 v[48:49], v[10:11], 2.0, -v[34:35]
	;; [unrolled: 1-line block ×6, first 2 shown]
	v_add_nc_u32_e32 v8, 0xdc, v84
	v_lshl_add_u32 v9, v84, 5, 0
	v_lshl_add_u32 v14, v41, 5, 0
	;; [unrolled: 1-line block ×3, first 2 shown]
	ds_write_b128 v9, v[36:39] offset:16
	ds_write_b128 v14, v[32:35] offset:16
	;; [unrolled: 1-line block ×3, first 2 shown]
	ds_write_b128 v9, v[42:45]
	ds_write_b128 v14, v[46:49]
	;; [unrolled: 1-line block ×3, first 2 shown]
	ds_write_b128 v9, v[10:13] offset:10560
	ds_write_b128 v9, v[20:23] offset:10576
	v_cmpx_gt_u32_e32 55, v84
	s_cbranch_execz .LBB0_15
; %bb.14:
	v_fma_f64 v[6:7], v[6:7], 2.0, -v[2:3]
	v_fma_f64 v[4:5], v[4:5], 2.0, -v[0:1]
	ds_write_b128 v9, v[4:7] offset:14080
	ds_write_b128 v9, v[0:3] offset:14096
.LBB0_15:
	s_or_b32 exec_lo, exec_lo, s1
	v_and_b32_e32 v81, 1, v84
	s_waitcnt lgkmcnt(0)
	s_barrier
	buffer_gl0_inv
	v_lshlrev_b32_e32 v14, 4, v84
	v_lshlrev_b32_e32 v10, 5, v81
	v_and_b32_e32 v44, 0xff, v41
	s_mov_b32 s0, 0xe8584caa
	s_mov_b32 s1, 0x3febb67a
	v_sub_nc_u32_e32 v40, v9, v14
	s_clause 0x1
	global_load_dwordx4 v[4:7], v10, s[8:9]
	global_load_dwordx4 v[10:13], v10, s[8:9] offset:16
	ds_read_b128 v[14:17], v40 offset:5280
	ds_read_b128 v[18:21], v40 offset:10560
	;; [unrolled: 1-line block ×7, first 2 shown]
	s_mov_b32 s5, 0xbfebb67a
	s_mov_b32 s4, s0
	v_mul_lo_u16 v85, 0xab, v44
	v_mov_b32_e32 v82, 5
	s_waitcnt vmcnt(1) lgkmcnt(6)
	v_mul_f64 v[38:39], v[16:17], v[6:7]
	v_mul_f64 v[42:43], v[14:15], v[6:7]
	s_waitcnt vmcnt(0) lgkmcnt(5)
	v_mul_f64 v[49:50], v[20:21], v[12:13]
	v_mul_f64 v[51:52], v[18:19], v[12:13]
	s_waitcnt lgkmcnt(4)
	v_mul_f64 v[53:54], v[24:25], v[6:7]
	v_mul_f64 v[55:56], v[22:23], v[6:7]
	s_waitcnt lgkmcnt(3)
	;; [unrolled: 3-line block ×4, first 2 shown]
	v_mul_f64 v[63:64], v[36:37], v[12:13]
	v_mul_f64 v[12:13], v[34:35], v[12:13]
	v_fma_f64 v[14:15], v[14:15], v[4:5], -v[38:39]
	v_fma_f64 v[16:17], v[16:17], v[4:5], v[42:43]
	v_fma_f64 v[18:19], v[18:19], v[10:11], -v[49:50]
	v_fma_f64 v[20:21], v[20:21], v[10:11], v[51:52]
	;; [unrolled: 2-line block ×6, first 2 shown]
	v_lshrrev_b32_e32 v57, 1, v8
	ds_read_b128 v[4:7], v40
	ds_read_b128 v[9:12], v40 offset:1760
	v_and_b32_e32 v43, 0xff, v84
	v_mov_b32_e32 v59, 0xaaab
	v_mul_u32_u24_e32 v83, 6, v57
	v_lshrrev_b32_e32 v13, 1, v84
	v_lshrrev_b32_e32 v42, 1, v41
	v_mul_lo_u16 v60, 0xab, v43
	v_mul_u32_u24_sdwa v88, v8, v59 dst_sel:DWORD dst_unused:UNUSED_PAD src0_sel:WORD_0 src1_sel:DWORD
	s_waitcnt lgkmcnt(0)
	v_mul_u32_u24_e32 v13, 6, v13
	v_add_f64 v[38:39], v[14:15], v[18:19]
	v_add_f64 v[49:50], v[16:17], v[20:21]
	v_lshrrev_b16 v89, 10, v60
	v_add_f64 v[71:72], v[16:17], -v[20:21]
	v_add_f64 v[51:52], v[22:23], v[26:27]
	v_add_f64 v[53:54], v[24:25], v[28:29]
	v_add_f64 v[73:74], v[14:15], -v[18:19]
	v_add_f64 v[75:76], v[24:25], -v[28:29]
	v_add_f64 v[55:56], v[30:31], v[34:35]
	v_add_f64 v[57:58], v[32:33], v[36:37]
	;; [unrolled: 1-line block ×6, first 2 shown]
	v_add_f64 v[77:78], v[22:23], -v[26:27]
	v_add_f64 v[67:68], v[45:46], v[30:31]
	v_add_f64 v[69:70], v[47:48], v[32:33]
	v_add_f64 v[79:80], v[32:33], -v[36:37]
	v_mul_u32_u24_e32 v42, 6, v42
	s_barrier
	buffer_gl0_inv
	v_fma_f64 v[38:39], v[38:39], -0.5, v[4:5]
	v_fma_f64 v[49:50], v[49:50], -0.5, v[6:7]
	v_or_b32_e32 v42, v42, v81
	v_fma_f64 v[51:52], v[51:52], -0.5, v[9:10]
	v_fma_f64 v[53:54], v[53:54], -0.5, v[11:12]
	;; [unrolled: 1-line block ×3, first 2 shown]
	v_add_f64 v[55:56], v[30:31], -v[34:35]
	v_fma_f64 v[47:48], v[57:58], -0.5, v[47:48]
	v_add_f64 v[4:5], v[59:60], v[18:19]
	v_add_f64 v[6:7], v[61:62], v[20:21]
	v_add_f64 v[9:10], v[63:64], v[26:27]
	v_add_f64 v[11:12], v[65:66], v[28:29]
	v_or_b32_e32 v57, v13, v81
	v_add_f64 v[13:14], v[67:68], v[34:35]
	v_add_f64 v[15:16], v[69:70], v[36:37]
	v_or_b32_e32 v58, v83, v81
	v_lshrrev_b16 v81, 10, v85
	v_mul_lo_u16 v37, v89, 6
	v_fma_f64 v[17:18], v[71:72], s[0:1], v[38:39]
	v_fma_f64 v[19:20], v[73:74], s[4:5], v[49:50]
	;; [unrolled: 1-line block ×9, first 2 shown]
	v_lshrrev_b32_e32 v75, 18, v88
	v_fma_f64 v[35:36], v[55:56], s[4:5], v[47:48]
	v_fma_f64 v[45:46], v[79:80], s[4:5], v[45:46]
	;; [unrolled: 1-line block ×3, first 2 shown]
	v_mul_lo_u16 v38, v81, 6
	v_mul_lo_u16 v49, v75, 6
	v_sub_nc_u16 v76, v84, v37
	v_lshl_add_u32 v39, v57, 4, 0
	v_lshl_add_u32 v37, v42, 4, 0
	v_sub_nc_u16 v77, v41, v38
	v_sub_nc_u16 v78, v8, v49
	v_lshlrev_b32_sdwa v8, v82, v76 dst_sel:DWORD dst_unused:UNUSED_PAD src0_sel:DWORD src1_sel:BYTE_0
	v_lshl_add_u32 v38, v58, 4, 0
	ds_write_b128 v39, v[4:7]
	ds_write_b128 v39, v[17:20] offset:32
	ds_write_b128 v39, v[21:24] offset:64
	ds_write_b128 v37, v[9:12]
	ds_write_b128 v37, v[25:28] offset:32
	ds_write_b128 v37, v[29:32] offset:64
	;; [unrolled: 3-line block ×3, first 2 shown]
	v_lshlrev_b32_sdwa v42, v82, v77 dst_sel:DWORD dst_unused:UNUSED_PAD src0_sel:DWORD src1_sel:BYTE_0
	s_waitcnt lgkmcnt(0)
	s_barrier
	buffer_gl0_inv
	s_clause 0x1
	global_load_dwordx4 v[4:7], v8, s[8:9] offset:64
	global_load_dwordx4 v[8:11], v8, s[8:9] offset:80
	v_lshlrev_b32_sdwa v24, v82, v78 dst_sel:DWORD dst_unused:UNUSED_PAD src0_sel:DWORD src1_sel:WORD_0
	s_clause 0x3
	global_load_dwordx4 v[12:15], v42, s[8:9] offset:64
	global_load_dwordx4 v[16:19], v42, s[8:9] offset:80
	;; [unrolled: 1-line block ×4, first 2 shown]
	ds_read_b128 v[28:31], v40 offset:5280
	ds_read_b128 v[32:35], v40 offset:10560
	;; [unrolled: 1-line block ×7, first 2 shown]
	v_mov_b32_e32 v79, 0x120
	v_mov_b32_e32 v42, 4
	s_waitcnt vmcnt(5) lgkmcnt(6)
	v_mul_f64 v[61:62], v[30:31], v[6:7]
	s_waitcnt vmcnt(4) lgkmcnt(5)
	v_mul_f64 v[63:64], v[34:35], v[10:11]
	v_mul_f64 v[6:7], v[28:29], v[6:7]
	v_mul_f64 v[10:11], v[32:33], v[10:11]
	s_waitcnt vmcnt(3) lgkmcnt(4)
	v_mul_f64 v[65:66], v[38:39], v[14:15]
	s_waitcnt vmcnt(2) lgkmcnt(3)
	v_mul_f64 v[67:68], v[47:48], v[18:19]
	v_mul_f64 v[14:15], v[36:37], v[14:15]
	v_mul_f64 v[18:19], v[45:46], v[18:19]
	;; [unrolled: 6-line block ×3, first 2 shown]
	v_fma_f64 v[28:29], v[28:29], v[4:5], -v[61:62]
	v_fma_f64 v[32:33], v[32:33], v[8:9], -v[63:64]
	v_fma_f64 v[30:31], v[30:31], v[4:5], v[6:7]
	v_fma_f64 v[34:35], v[34:35], v[8:9], v[10:11]
	v_fma_f64 v[36:37], v[36:37], v[12:13], -v[65:66]
	v_fma_f64 v[45:46], v[45:46], v[16:17], -v[67:68]
	v_fma_f64 v[12:13], v[38:39], v[12:13], v[14:15]
	v_fma_f64 v[14:15], v[47:48], v[16:17], v[18:19]
	;; [unrolled: 4-line block ×3, first 2 shown]
	ds_read_b128 v[4:7], v40
	ds_read_b128 v[8:11], v40 offset:1760
	s_waitcnt lgkmcnt(0)
	s_barrier
	buffer_gl0_inv
	v_add_f64 v[24:25], v[28:29], v[32:33]
	v_add_f64 v[69:70], v[28:29], -v[32:33]
	v_add_f64 v[26:27], v[30:31], v[34:35]
	v_add_f64 v[38:39], v[36:37], v[45:46]
	v_add_f64 v[73:74], v[36:37], -v[45:46]
	v_add_f64 v[47:48], v[12:13], v[14:15]
	v_add_f64 v[71:72], v[12:13], -v[14:15]
	v_add_f64 v[49:50], v[16:17], v[18:19]
	v_add_f64 v[53:54], v[4:5], v[28:29]
	v_add_f64 v[51:52], v[20:21], v[22:23]
	v_add_f64 v[55:56], v[6:7], v[30:31]
	v_add_f64 v[30:31], v[30:31], -v[34:35]
	v_add_f64 v[61:62], v[8:9], v[36:37]
	v_add_f64 v[63:64], v[10:11], v[12:13]
	;; [unrolled: 1-line block ×4, first 2 shown]
	v_add_f64 v[20:21], v[20:21], -v[22:23]
	v_fma_f64 v[4:5], v[24:25], -0.5, v[4:5]
	v_fma_f64 v[6:7], v[26:27], -0.5, v[6:7]
	v_fma_f64 v[38:39], v[38:39], -0.5, v[8:9]
	v_fma_f64 v[47:48], v[47:48], -0.5, v[10:11]
	v_fma_f64 v[49:50], v[49:50], -0.5, v[57:58]
	v_add_f64 v[57:58], v[16:17], -v[18:19]
	v_fma_f64 v[51:52], v[51:52], -0.5, v[59:60]
	v_add_f64 v[8:9], v[53:54], v[32:33]
	v_add_f64 v[10:11], v[55:56], v[34:35]
	v_add_f64 v[24:25], v[61:62], v[45:46]
	v_add_f64 v[26:27], v[63:64], v[14:15]
	v_add_f64 v[12:13], v[65:66], v[18:19]
	v_add_f64 v[14:15], v[67:68], v[22:23]
	v_mul_u32_u24_sdwa v59, v89, v79 dst_sel:DWORD dst_unused:UNUSED_PAD src0_sel:WORD_0 src1_sel:DWORD
	v_mul_u32_u24_sdwa v45, v81, v79 dst_sel:DWORD dst_unused:UNUSED_PAD src0_sel:WORD_0 src1_sel:DWORD
	v_mul_u32_u24_e32 v46, 0x120, v75
	v_fma_f64 v[28:29], v[30:31], s[0:1], v[4:5]
	v_fma_f64 v[32:33], v[30:31], s[4:5], v[4:5]
	;; [unrolled: 1-line block ×12, first 2 shown]
	v_lshlrev_b32_sdwa v47, v42, v76 dst_sel:DWORD dst_unused:UNUSED_PAD src0_sel:DWORD src1_sel:BYTE_0
	v_lshlrev_b32_sdwa v48, v42, v77 dst_sel:DWORD dst_unused:UNUSED_PAD src0_sel:DWORD src1_sel:BYTE_0
	v_lshlrev_b32_sdwa v49, v42, v78 dst_sel:DWORD dst_unused:UNUSED_PAD src0_sel:DWORD src1_sel:WORD_0
	v_cmp_gt_u32_e64 s0, 0x58, v84
	v_add3_u32 v47, 0, v59, v47
	v_add3_u32 v45, 0, v45, v48
	;; [unrolled: 1-line block ×3, first 2 shown]
	ds_write_b128 v47, v[8:11]
	ds_write_b128 v47, v[28:31] offset:96
	ds_write_b128 v47, v[32:35] offset:192
	ds_write_b128 v45, v[24:27]
	ds_write_b128 v45, v[36:39] offset:96
	ds_write_b128 v45, v[4:7] offset:192
	;; [unrolled: 3-line block ×3, first 2 shown]
	s_waitcnt lgkmcnt(0)
	s_barrier
	buffer_gl0_inv
	ds_read_b128 v[8:11], v40
	ds_read_b128 v[36:39], v40 offset:3168
	ds_read_b128 v[32:35], v40 offset:6336
	ds_read_b128 v[28:31], v40 offset:9504
	ds_read_b128 v[24:27], v40 offset:12672
	s_and_saveexec_b32 s1, s0
	s_cbranch_execz .LBB0_17
; %bb.16:
	ds_read_b128 v[4:7], v40 offset:1760
	ds_read_b128 v[12:15], v40 offset:4928
	;; [unrolled: 1-line block ×5, first 2 shown]
.LBB0_17:
	s_or_b32 exec_lo, exec_lo, s1
	v_mul_lo_u16 v43, v43, 57
	v_mov_b32_e32 v52, 6
	s_mov_b32 s12, 0x134454ff
	s_mov_b32 s13, 0x3fee6f0e
	;; [unrolled: 1-line block ×3, first 2 shown]
	v_lshrrev_b16 v85, 10, v43
	v_mul_lo_u16 v43, v44, 57
	s_mov_b32 s10, s12
	s_mov_b32 s4, 0x4755a5e
	;; [unrolled: 1-line block ×3, first 2 shown]
	v_mul_lo_u16 v44, v85, 18
	v_lshrrev_b16 v43, 10, v43
	s_mov_b32 s7, 0xbfe2cf23
	s_mov_b32 s6, s4
	v_sub_nc_u16 v110, v84, v44
	v_mul_lo_u16 v44, v43, 18
	v_lshlrev_b32_sdwa v56, v52, v110 dst_sel:DWORD dst_unused:UNUSED_PAD src0_sel:DWORD src1_sel:BYTE_0
	v_sub_nc_u16 v41, v41, v44
	v_lshlrev_b32_sdwa v42, v42, v110 dst_sel:DWORD dst_unused:UNUSED_PAD src0_sel:DWORD src1_sel:BYTE_0
	s_clause 0x1
	global_load_dwordx4 v[44:47], v56, s[8:9] offset:256
	global_load_dwordx4 v[48:51], v56, s[8:9] offset:272
	v_lshlrev_b32_sdwa v72, v52, v41 dst_sel:DWORD dst_unused:UNUSED_PAD src0_sel:DWORD src1_sel:BYTE_0
	s_clause 0x5
	global_load_dwordx4 v[52:55], v56, s[8:9] offset:288
	global_load_dwordx4 v[56:59], v56, s[8:9] offset:304
	global_load_dwordx4 v[60:63], v72, s[8:9] offset:256
	global_load_dwordx4 v[64:67], v72, s[8:9] offset:272
	global_load_dwordx4 v[68:71], v72, s[8:9] offset:288
	global_load_dwordx4 v[72:75], v72, s[8:9] offset:304
	s_waitcnt vmcnt(0) lgkmcnt(0)
	s_barrier
	buffer_gl0_inv
	v_mul_f64 v[80:81], v[30:31], v[54:55]
	v_mul_f64 v[76:77], v[38:39], v[46:47]
	;; [unrolled: 1-line block ×16, first 2 shown]
	v_fma_f64 v[28:29], v[28:29], v[52:53], -v[80:81]
	v_fma_f64 v[36:37], v[36:37], v[44:45], -v[76:77]
	v_fma_f64 v[38:39], v[38:39], v[44:45], v[46:47]
	v_fma_f64 v[32:33], v[32:33], v[48:49], -v[78:79]
	v_fma_f64 v[34:35], v[34:35], v[48:49], v[50:51]
	v_fma_f64 v[30:31], v[30:31], v[52:53], v[54:55]
	v_fma_f64 v[24:25], v[24:25], v[56:57], -v[82:83]
	v_fma_f64 v[26:27], v[26:27], v[56:57], v[58:59]
	v_fma_f64 v[12:13], v[12:13], v[60:61], -v[88:89]
	;; [unrolled: 2-line block ×4, first 2 shown]
	v_fma_f64 v[44:45], v[0:1], v[72:73], -v[94:95]
	v_fma_f64 v[0:1], v[22:23], v[68:69], v[70:71]
	v_fma_f64 v[22:23], v[2:3], v[72:73], v[74:75]
	v_add_f64 v[68:69], v[8:9], v[36:37]
	v_add_f64 v[70:71], v[10:11], v[38:39]
	;; [unrolled: 1-line block ×3, first 2 shown]
	v_add_f64 v[60:61], v[36:37], -v[32:33]
	v_add_f64 v[48:49], v[34:35], v[30:31]
	v_add_f64 v[46:47], v[36:37], v[24:25]
	v_add_f64 v[50:51], v[38:39], v[26:27]
	v_add_f64 v[62:63], v[24:25], -v[28:29]
	v_add_f64 v[64:65], v[32:33], -v[36:37]
	v_add_f64 v[66:67], v[28:29], -v[24:25]
	v_add_f64 v[72:73], v[38:39], -v[34:35]
	v_add_f64 v[52:53], v[16:17], v[20:21]
	v_add_f64 v[54:55], v[12:13], v[44:45]
	;; [unrolled: 1-line block ×6, first 2 shown]
	v_add_f64 v[78:79], v[26:27], -v[30:31]
	v_add_f64 v[80:81], v[34:35], -v[38:39]
	;; [unrolled: 1-line block ×11, first 2 shown]
	v_fma_f64 v[2:3], v[2:3], -0.5, v[8:9]
	v_add_f64 v[108:109], v[16:17], -v[20:21]
	v_fma_f64 v[8:9], v[46:47], -0.5, v[8:9]
	v_add_f64 v[46:47], v[18:19], -v[0:1]
	;; [unrolled: 2-line block ×4, first 2 shown]
	v_fma_f64 v[50:51], v[52:53], -0.5, v[4:5]
	v_fma_f64 v[4:5], v[54:55], -0.5, v[4:5]
	;; [unrolled: 1-line block ×4, first 2 shown]
	v_add_f64 v[90:91], v[44:45], -v[20:21]
	v_add_f64 v[94:95], v[20:21], -v[44:45]
	;; [unrolled: 1-line block ×4, first 2 shown]
	v_add_f64 v[54:55], v[60:61], v[62:63]
	v_add_f64 v[56:57], v[64:65], v[66:67]
	;; [unrolled: 1-line block ×8, first 2 shown]
	v_fma_f64 v[66:67], v[38:39], s[12:13], v[2:3]
	v_fma_f64 v[2:3], v[38:39], s[10:11], v[2:3]
	;; [unrolled: 1-line block ×16, first 2 shown]
	v_add_f64 v[62:63], v[88:89], v[90:91]
	v_add_f64 v[64:65], v[92:93], v[94:95]
	;; [unrolled: 1-line block ×8, first 2 shown]
	v_fma_f64 v[32:33], v[106:107], s[4:5], v[66:67]
	v_fma_f64 v[34:35], v[106:107], s[6:7], v[2:3]
	;; [unrolled: 1-line block ×16, first 2 shown]
	s_mov_b32 s4, 0x372fe950
	s_mov_b32 s5, 0x3fd3c6ef
	v_add_f64 v[0:1], v[28:29], v[24:25]
	v_add_f64 v[2:3], v[30:31], v[26:27]
	;; [unrolled: 1-line block ×4, first 2 shown]
	v_fma_f64 v[4:5], v[54:55], s[4:5], v[32:33]
	v_fma_f64 v[16:17], v[54:55], s[4:5], v[34:35]
	;; [unrolled: 1-line block ×16, first 2 shown]
	v_mov_b32_e32 v44, 0x5a0
	v_mul_u32_u24_sdwa v45, v85, v44 dst_sel:DWORD dst_unused:UNUSED_PAD src0_sel:WORD_0 src1_sel:DWORD
	v_add3_u32 v42, 0, v45, v42
	ds_write_b128 v42, v[0:3]
	ds_write_b128 v42, v[4:7] offset:288
	ds_write_b128 v42, v[8:11] offset:576
	ds_write_b128 v42, v[12:15] offset:864
	ds_write_b128 v42, v[16:19] offset:1152
	s_and_saveexec_b32 s1, s0
	s_cbranch_execz .LBB0_19
; %bb.18:
	v_mov_b32_e32 v42, 4
	v_mul_u32_u24_sdwa v43, v43, v44 dst_sel:DWORD dst_unused:UNUSED_PAD src0_sel:WORD_0 src1_sel:DWORD
	v_lshlrev_b32_sdwa v41, v42, v41 dst_sel:DWORD dst_unused:UNUSED_PAD src0_sel:DWORD src1_sel:BYTE_0
	v_add3_u32 v41, 0, v43, v41
	ds_write_b128 v41, v[20:23]
	ds_write_b128 v41, v[24:27] offset:288
	ds_write_b128 v41, v[28:31] offset:576
	;; [unrolled: 1-line block ×4, first 2 shown]
.LBB0_19:
	s_or_b32 exec_lo, exec_lo, s1
	v_cmp_gt_u32_e64 s0, 0x5a, v84
	s_waitcnt lgkmcnt(0)
	s_barrier
	buffer_gl0_inv
                                        ; implicit-def: $vgpr42_vgpr43
	s_and_saveexec_b32 s1, s0
	s_cbranch_execnz .LBB0_22
; %bb.20:
	s_or_b32 exec_lo, exec_lo, s1
	s_and_b32 s0, vcc_lo, s0
	s_and_saveexec_b32 s1, s0
	s_cbranch_execnz .LBB0_23
.LBB0_21:
	s_endpgm
.LBB0_22:
	ds_read_b128 v[0:3], v40
	ds_read_b128 v[4:7], v40 offset:1440
	ds_read_b128 v[8:11], v40 offset:2880
	;; [unrolled: 1-line block ×10, first 2 shown]
	s_or_b32 exec_lo, exec_lo, s1
	s_and_b32 s0, vcc_lo, s0
	s_and_saveexec_b32 s1, s0
	s_cbranch_execz .LBB0_21
.LBB0_23:
	v_mul_u32_u24_e32 v44, 10, v84
	s_mov_b32 s0, 0x640f44db
	s_mov_b32 s12, 0x43842ef
	;; [unrolled: 1-line block ×4, first 2 shown]
	v_lshlrev_b32_e32 v76, 4, v44
	s_mov_b32 s4, 0x7f775887
	s_mov_b32 s16, 0xbb3a28a1
	;; [unrolled: 1-line block ×4, first 2 shown]
	s_clause 0x9
	global_load_dwordx4 v[44:47], v76, s[8:9] offset:1408
	global_load_dwordx4 v[60:63], v76, s[8:9] offset:1552
	;; [unrolled: 1-line block ×10, first 2 shown]
	s_mov_b32 s8, 0x8764f0ba
	s_mov_b32 s20, 0xfd768dbf
	;; [unrolled: 1-line block ×22, first 2 shown]
	v_mov_b32_e32 v85, 0
	v_add_co_u32 v86, vcc_lo, s2, v86
	v_add_co_ci_u32_e32 v87, vcc_lo, s3, v87, vcc_lo
	v_lshlrev_b64 v[84:85], 4, v[84:85]
	v_add_co_u32 v84, vcc_lo, v86, v84
	v_add_co_ci_u32_e32 v85, vcc_lo, v87, v85, vcc_lo
	v_add_co_u32 v86, vcc_lo, 0x800, v84
	v_add_co_ci_u32_e32 v87, vcc_lo, 0, v85, vcc_lo
	;; [unrolled: 2-line block ×3, first 2 shown]
	s_waitcnt vmcnt(9) lgkmcnt(9)
	v_mul_f64 v[88:89], v[6:7], v[44:45]
	s_waitcnt vmcnt(8) lgkmcnt(0)
	v_mul_f64 v[90:91], v[42:43], v[60:61]
	v_mul_f64 v[6:7], v[6:7], v[46:47]
	;; [unrolled: 1-line block ×3, first 2 shown]
	s_waitcnt vmcnt(5)
	v_mul_f64 v[96:97], v[10:11], v[48:49]
	s_waitcnt vmcnt(4)
	v_mul_f64 v[98:99], v[38:39], v[64:65]
	s_waitcnt vmcnt(3)
	v_mul_f64 v[100:101], v[14:15], v[80:81]
	s_waitcnt vmcnt(2)
	v_mul_f64 v[102:103], v[34:35], v[68:69]
	v_mul_f64 v[14:15], v[14:15], v[82:83]
	v_mul_f64 v[34:35], v[34:35], v[70:71]
	;; [unrolled: 1-line block ×6, first 2 shown]
	s_waitcnt vmcnt(0)
	v_mul_f64 v[106:107], v[26:27], v[76:77]
	v_mul_f64 v[26:27], v[26:27], v[78:79]
	;; [unrolled: 1-line block ×6, first 2 shown]
	v_fma_f64 v[46:47], v[4:5], v[46:47], v[88:89]
	v_fma_f64 v[62:63], v[40:41], v[62:63], v[90:91]
	v_fma_f64 v[4:5], v[4:5], v[44:45], -v[6:7]
	v_fma_f64 v[40:41], v[40:41], v[60:61], -v[42:43]
	v_fma_f64 v[50:51], v[8:9], v[50:51], v[96:97]
	v_fma_f64 v[66:67], v[36:37], v[66:67], v[98:99]
	;; [unrolled: 1-line block ×4, first 2 shown]
	v_fma_f64 v[12:13], v[12:13], v[80:81], -v[14:15]
	v_fma_f64 v[14:15], v[32:33], v[68:69], -v[34:35]
	v_fma_f64 v[8:9], v[8:9], v[48:49], -v[10:11]
	v_fma_f64 v[10:11], v[36:37], v[64:65], -v[38:39]
	v_fma_f64 v[54:55], v[20:21], v[54:55], v[92:93]
	v_fma_f64 v[6:7], v[20:21], v[52:53], -v[22:23]
	v_fma_f64 v[78:79], v[24:25], v[78:79], v[106:107]
	v_fma_f64 v[20:21], v[24:25], v[76:77], -v[26:27]
	v_fma_f64 v[58:59], v[16:17], v[58:59], v[94:95]
	v_fma_f64 v[74:75], v[28:29], v[74:75], v[104:105]
	v_fma_f64 v[16:17], v[16:17], v[56:57], -v[18:19]
	v_fma_f64 v[18:19], v[28:29], v[72:73], -v[30:31]
	v_add_co_u32 v44, vcc_lo, 0x1800, v84
	v_add_f64 v[38:39], v[2:3], v[46:47]
	v_add_f64 v[22:23], v[46:47], v[62:63]
	v_add_f64 v[24:25], v[46:47], -v[62:63]
	v_add_f64 v[34:35], v[4:5], -v[40:41]
	v_add_f64 v[36:37], v[4:5], v[40:41]
	v_add_f64 v[4:5], v[0:1], v[4:5]
	;; [unrolled: 1-line block ×3, first 2 shown]
	v_add_f64 v[68:69], v[50:51], -v[66:67]
	v_add_f64 v[28:29], v[82:83], v[70:71]
	v_add_f64 v[76:77], v[82:83], -v[70:71]
	v_add_f64 v[42:43], v[12:13], -v[14:15]
	;; [unrolled: 1-line block ×3, first 2 shown]
	v_add_f64 v[72:73], v[8:9], v[10:11]
	v_add_f64 v[80:81], v[12:13], v[14:15]
	;; [unrolled: 1-line block ×3, first 2 shown]
	v_add_f64 v[60:61], v[54:55], -v[78:79]
	v_add_f64 v[52:53], v[6:7], -v[20:21]
	v_add_f64 v[30:31], v[58:59], v[74:75]
	v_add_f64 v[88:89], v[58:59], -v[74:75]
	v_add_f64 v[46:47], v[16:17], -v[18:19]
	v_add_f64 v[64:65], v[6:7], v[20:21]
	v_add_f64 v[90:91], v[16:17], v[18:19]
	;; [unrolled: 1-line block ×3, first 2 shown]
	v_mul_f64 v[92:93], v[22:23], s[10:11]
	v_mul_f64 v[94:95], v[24:25], s[26:27]
	;; [unrolled: 1-line block ×4, first 2 shown]
	v_add_f64 v[4:5], v[8:9], v[4:5]
	v_mul_f64 v[100:101], v[22:23], s[0:1]
	v_mul_f64 v[102:103], v[24:25], s[24:25]
	;; [unrolled: 1-line block ×16, first 2 shown]
	v_add_f64 v[38:39], v[82:83], v[38:39]
	v_fma_f64 v[170:171], v[34:35], s[20:21], v[92:93]
	v_fma_f64 v[92:93], v[34:35], s[26:27], v[92:93]
	;; [unrolled: 1-line block ×4, first 2 shown]
	v_add_f64 v[4:5], v[12:13], v[4:5]
	v_fma_f64 v[178:179], v[34:35], s[12:13], v[100:101]
	v_fma_f64 v[100:101], v[34:35], s[24:25], v[100:101]
	;; [unrolled: 1-line block ×7, first 2 shown]
	v_fma_f64 v[24:25], v[36:37], s[8:9], -v[24:25]
	v_mul_f64 v[112:113], v[28:29], s[4:5]
	v_mul_f64 v[114:115], v[30:31], s[6:7]
	;; [unrolled: 1-line block ×8, first 2 shown]
	v_add_f64 v[38:39], v[58:59], v[38:39]
	v_mul_f64 v[126:127], v[30:31], s[8:9]
	v_mul_f64 v[128:129], v[30:31], s[0:1]
	;; [unrolled: 1-line block ×4, first 2 shown]
	v_add_f64 v[4:5], v[16:17], v[4:5]
	v_mul_f64 v[132:133], v[28:29], s[6:7]
	v_mul_f64 v[134:135], v[28:29], s[10:11]
	;; [unrolled: 1-line block ×18, first 2 shown]
	v_fma_f64 v[172:173], v[36:37], s[10:11], v[94:95]
	v_fma_f64 v[94:95], v[36:37], s[10:11], -v[94:95]
	v_fma_f64 v[176:177], v[36:37], s[4:5], v[98:99]
	v_fma_f64 v[98:99], v[36:37], s[4:5], -v[98:99]
	;; [unrolled: 2-line block ×4, first 2 shown]
	v_add_f64 v[38:39], v[54:55], v[38:39]
	v_add_f64 v[4:5], v[6:7], v[4:5]
	v_fma_f64 v[218:219], v[56:57], s[28:29], v[26:27]
	v_fma_f64 v[26:27], v[56:57], s[14:15], v[26:27]
	v_fma_f64 v[230:231], v[72:73], s[6:7], v[68:69]
	v_fma_f64 v[68:69], v[72:73], s[6:7], -v[68:69]
	v_add_f64 v[22:23], v[2:3], v[22:23]
	v_add_f64 v[24:25], v[0:1], v[24:25]
	v_fma_f64 v[36:37], v[42:43], s[16:17], v[112:113]
	v_fma_f64 v[188:189], v[46:47], s[14:15], v[114:115]
	;; [unrolled: 1-line block ×39, first 2 shown]
	v_fma_f64 v[56:57], v[64:65], s[0:1], -v[142:143]
	v_fma_f64 v[82:83], v[64:65], s[6:7], v[144:145]
	v_fma_f64 v[142:143], v[64:65], s[6:7], -v[144:145]
	v_fma_f64 v[144:145], v[64:65], s[4:5], v[146:147]
	;; [unrolled: 2-line block ×18, first 2 shown]
	v_fma_f64 v[88:89], v[90:91], s[4:5], -v[88:89]
	v_add_f64 v[6:7], v[2:3], v[170:171]
	v_add_f64 v[54:55], v[0:1], v[172:173]
	;; [unrolled: 1-line block ×104, first 2 shown]
	v_add_co_ci_u32_e32 v45, vcc_lo, 0, v85, vcc_lo
	v_add_f64 v[42:43], v[62:63], v[66:67]
	v_add_f64 v[40:41], v[40:41], v[74:75]
	;; [unrolled: 1-line block ×4, first 2 shown]
	v_add_co_u32 v48, vcc_lo, 0x2000, v84
	v_add_co_ci_u32_e32 v49, vcc_lo, 0, v85, vcc_lo
	v_add_co_u32 v46, vcc_lo, 0x2800, v84
	v_add_co_ci_u32_e32 v47, vcc_lo, 0, v85, vcc_lo
	;; [unrolled: 2-line block ×4, first 2 shown]
	global_store_dwordx4 v[84:85], v[28:31], off offset:1440
	global_store_dwordx4 v[86:87], v[24:27], off offset:832
	;; [unrolled: 1-line block ×9, first 2 shown]
	global_store_dwordx4 v[84:85], v[40:43], off
	global_store_dwordx4 v[52:53], v[36:39], off offset:64
	s_endpgm
	.section	.rodata,"a",@progbits
	.p2align	6, 0x0
	.amdhsa_kernel fft_rtc_fwd_len990_factors_2_3_3_5_11_wgs_110_tpt_110_dp_ip_CI_unitstride_sbrr_dirReg
		.amdhsa_group_segment_fixed_size 0
		.amdhsa_private_segment_fixed_size 0
		.amdhsa_kernarg_size 88
		.amdhsa_user_sgpr_count 6
		.amdhsa_user_sgpr_private_segment_buffer 1
		.amdhsa_user_sgpr_dispatch_ptr 0
		.amdhsa_user_sgpr_queue_ptr 0
		.amdhsa_user_sgpr_kernarg_segment_ptr 1
		.amdhsa_user_sgpr_dispatch_id 0
		.amdhsa_user_sgpr_flat_scratch_init 0
		.amdhsa_user_sgpr_private_segment_size 0
		.amdhsa_wavefront_size32 1
		.amdhsa_uses_dynamic_stack 0
		.amdhsa_system_sgpr_private_segment_wavefront_offset 0
		.amdhsa_system_sgpr_workgroup_id_x 1
		.amdhsa_system_sgpr_workgroup_id_y 0
		.amdhsa_system_sgpr_workgroup_id_z 0
		.amdhsa_system_sgpr_workgroup_info 0
		.amdhsa_system_vgpr_workitem_id 0
		.amdhsa_next_free_vgpr 244
		.amdhsa_next_free_sgpr 32
		.amdhsa_reserve_vcc 1
		.amdhsa_reserve_flat_scratch 0
		.amdhsa_float_round_mode_32 0
		.amdhsa_float_round_mode_16_64 0
		.amdhsa_float_denorm_mode_32 3
		.amdhsa_float_denorm_mode_16_64 3
		.amdhsa_dx10_clamp 1
		.amdhsa_ieee_mode 1
		.amdhsa_fp16_overflow 0
		.amdhsa_workgroup_processor_mode 1
		.amdhsa_memory_ordered 1
		.amdhsa_forward_progress 0
		.amdhsa_shared_vgpr_count 0
		.amdhsa_exception_fp_ieee_invalid_op 0
		.amdhsa_exception_fp_denorm_src 0
		.amdhsa_exception_fp_ieee_div_zero 0
		.amdhsa_exception_fp_ieee_overflow 0
		.amdhsa_exception_fp_ieee_underflow 0
		.amdhsa_exception_fp_ieee_inexact 0
		.amdhsa_exception_int_div_zero 0
	.end_amdhsa_kernel
	.text
.Lfunc_end0:
	.size	fft_rtc_fwd_len990_factors_2_3_3_5_11_wgs_110_tpt_110_dp_ip_CI_unitstride_sbrr_dirReg, .Lfunc_end0-fft_rtc_fwd_len990_factors_2_3_3_5_11_wgs_110_tpt_110_dp_ip_CI_unitstride_sbrr_dirReg
                                        ; -- End function
	.section	.AMDGPU.csdata,"",@progbits
; Kernel info:
; codeLenInByte = 8672
; NumSgprs: 34
; NumVgprs: 244
; ScratchSize: 0
; MemoryBound: 1
; FloatMode: 240
; IeeeMode: 1
; LDSByteSize: 0 bytes/workgroup (compile time only)
; SGPRBlocks: 4
; VGPRBlocks: 30
; NumSGPRsForWavesPerEU: 34
; NumVGPRsForWavesPerEU: 244
; Occupancy: 4
; WaveLimiterHint : 1
; COMPUTE_PGM_RSRC2:SCRATCH_EN: 0
; COMPUTE_PGM_RSRC2:USER_SGPR: 6
; COMPUTE_PGM_RSRC2:TRAP_HANDLER: 0
; COMPUTE_PGM_RSRC2:TGID_X_EN: 1
; COMPUTE_PGM_RSRC2:TGID_Y_EN: 0
; COMPUTE_PGM_RSRC2:TGID_Z_EN: 0
; COMPUTE_PGM_RSRC2:TIDIG_COMP_CNT: 0
	.text
	.p2alignl 6, 3214868480
	.fill 48, 4, 3214868480
	.type	__hip_cuid_5fab08cec43a2fe3,@object ; @__hip_cuid_5fab08cec43a2fe3
	.section	.bss,"aw",@nobits
	.globl	__hip_cuid_5fab08cec43a2fe3
__hip_cuid_5fab08cec43a2fe3:
	.byte	0                               ; 0x0
	.size	__hip_cuid_5fab08cec43a2fe3, 1

	.ident	"AMD clang version 19.0.0git (https://github.com/RadeonOpenCompute/llvm-project roc-6.4.0 25133 c7fe45cf4b819c5991fe208aaa96edf142730f1d)"
	.section	".note.GNU-stack","",@progbits
	.addrsig
	.addrsig_sym __hip_cuid_5fab08cec43a2fe3
	.amdgpu_metadata
---
amdhsa.kernels:
  - .args:
      - .actual_access:  read_only
        .address_space:  global
        .offset:         0
        .size:           8
        .value_kind:     global_buffer
      - .offset:         8
        .size:           8
        .value_kind:     by_value
      - .actual_access:  read_only
        .address_space:  global
        .offset:         16
        .size:           8
        .value_kind:     global_buffer
      - .actual_access:  read_only
        .address_space:  global
        .offset:         24
        .size:           8
        .value_kind:     global_buffer
      - .offset:         32
        .size:           8
        .value_kind:     by_value
      - .actual_access:  read_only
        .address_space:  global
        .offset:         40
        .size:           8
        .value_kind:     global_buffer
      - .actual_access:  read_only
        .address_space:  global
        .offset:         48
        .size:           8
        .value_kind:     global_buffer
      - .offset:         56
        .size:           4
        .value_kind:     by_value
      - .actual_access:  read_only
        .address_space:  global
        .offset:         64
        .size:           8
        .value_kind:     global_buffer
      - .actual_access:  read_only
        .address_space:  global
        .offset:         72
        .size:           8
        .value_kind:     global_buffer
      - .address_space:  global
        .offset:         80
        .size:           8
        .value_kind:     global_buffer
    .group_segment_fixed_size: 0
    .kernarg_segment_align: 8
    .kernarg_segment_size: 88
    .language:       OpenCL C
    .language_version:
      - 2
      - 0
    .max_flat_workgroup_size: 110
    .name:           fft_rtc_fwd_len990_factors_2_3_3_5_11_wgs_110_tpt_110_dp_ip_CI_unitstride_sbrr_dirReg
    .private_segment_fixed_size: 0
    .sgpr_count:     34
    .sgpr_spill_count: 0
    .symbol:         fft_rtc_fwd_len990_factors_2_3_3_5_11_wgs_110_tpt_110_dp_ip_CI_unitstride_sbrr_dirReg.kd
    .uniform_work_group_size: 1
    .uses_dynamic_stack: false
    .vgpr_count:     244
    .vgpr_spill_count: 0
    .wavefront_size: 32
    .workgroup_processor_mode: 1
amdhsa.target:   amdgcn-amd-amdhsa--gfx1030
amdhsa.version:
  - 1
  - 2
...

	.end_amdgpu_metadata
